;; amdgpu-corpus repo=ROCm/rocFFT kind=compiled arch=gfx906 opt=O3
	.text
	.amdgcn_target "amdgcn-amd-amdhsa--gfx906"
	.amdhsa_code_object_version 6
	.protected	bluestein_single_back_len1470_dim1_sp_op_CI_CI ; -- Begin function bluestein_single_back_len1470_dim1_sp_op_CI_CI
	.globl	bluestein_single_back_len1470_dim1_sp_op_CI_CI
	.p2align	8
	.type	bluestein_single_back_len1470_dim1_sp_op_CI_CI,@function
bluestein_single_back_len1470_dim1_sp_op_CI_CI: ; @bluestein_single_back_len1470_dim1_sp_op_CI_CI
; %bb.0:
	s_load_dwordx4 s[12:15], s[4:5], 0x28
	v_mul_u32_u24_e32 v1, 0x139, v0
	v_add_u32_sdwa v62, s6, v1 dst_sel:DWORD dst_unused:UNUSED_PAD src0_sel:DWORD src1_sel:WORD_1
	v_mov_b32_e32 v63, 0
	s_waitcnt lgkmcnt(0)
	v_cmp_gt_u64_e32 vcc, s[12:13], v[62:63]
	s_and_saveexec_b64 s[0:1], vcc
	s_cbranch_execz .LBB0_31
; %bb.1:
	s_load_dwordx4 s[0:3], s[4:5], 0x18
	s_load_dwordx2 s[16:17], s[4:5], 0x0
	s_waitcnt lgkmcnt(0)
	s_load_dwordx4 s[8:11], s[0:1], 0x0
	s_movk_i32 s0, 0xd2
	v_mul_lo_u16_sdwa v1, v1, s0 dst_sel:DWORD dst_unused:UNUSED_PAD src0_sel:WORD_1 src1_sel:DWORD
	v_sub_u16_e32 v80, v0, v1
	v_lshlrev_b32_e32 v77, 3, v80
	s_waitcnt lgkmcnt(0)
	v_mad_u64_u32 v[0:1], s[0:1], s10, v62, 0
	v_mad_u64_u32 v[2:3], s[0:1], s8, v80, 0
	v_add_co_u32_e64 v78, s[6:7], s16, v77
	v_mad_u64_u32 v[4:5], s[0:1], s11, v62, v[1:2]
	v_mad_u64_u32 v[5:6], s[0:1], s9, v80, v[3:4]
	v_mov_b32_e32 v1, v4
	v_lshlrev_b64 v[0:1], 3, v[0:1]
	v_mov_b32_e32 v6, s15
	v_mov_b32_e32 v3, v5
	v_add_co_u32_e32 v4, vcc, s14, v0
	v_addc_co_u32_e32 v5, vcc, v6, v1, vcc
	v_lshlrev_b64 v[0:1], 3, v[2:3]
	s_mul_i32 s0, s9, 0x2df
	s_mul_hi_u32 s1, s8, 0x2df
	v_add_co_u32_e32 v0, vcc, v4, v0
	v_mov_b32_e32 v2, s17
	s_add_i32 s1, s1, s0
	s_mul_i32 s0, s8, 0x2df
	v_addc_co_u32_e32 v1, vcc, v5, v1, vcc
	v_addc_co_u32_e64 v79, vcc, 0, v2, s[6:7]
	s_lshl_b64 s[14:15], s[0:1], 3
	v_mov_b32_e32 v16, s15
	v_add_co_u32_e32 v2, vcc, s14, v0
	v_addc_co_u32_e32 v3, vcc, v1, v16, vcc
	s_movk_i32 s0, 0x1000
	s_mul_hi_u32 s1, s8, 0xfffffdf3
	global_load_dwordx2 v[4:5], v[0:1], off
	global_load_dwordx2 v[6:7], v[2:3], off
	v_add_co_u32_e32 v0, vcc, s0, v78
	s_mul_i32 s0, s9, 0xfffffdf3
	s_sub_i32 s1, s1, s8
	s_add_i32 s1, s1, s0
	s_mul_i32 s0, s8, 0xfffffdf3
	v_addc_co_u32_e32 v1, vcc, 0, v79, vcc
	s_lshl_b64 s[18:19], s[0:1], 3
	v_mov_b32_e32 v10, s19
	v_add_co_u32_e32 v2, vcc, s18, v2
	v_addc_co_u32_e32 v3, vcc, v3, v10, vcc
	v_add_co_u32_e32 v8, vcc, s14, v2
	v_addc_co_u32_e32 v9, vcc, v3, v16, vcc
	global_load_dwordx2 v[71:72], v77, s[16:17]
	global_load_dwordx2 v[67:68], v77, s[16:17] offset:1680
	global_load_dwordx2 v[69:70], v[0:1], off offset:1784
	global_load_dwordx2 v[65:66], v[0:1], off offset:3464
	v_add_co_u32_e32 v0, vcc, s18, v8
	v_addc_co_u32_e32 v1, vcc, v9, v10, vcc
	global_load_dwordx2 v[10:11], v[2:3], off
	global_load_dwordx2 v[12:13], v[8:9], off
	;; [unrolled: 1-line block ×3, first 2 shown]
	global_load_dwordx2 v[60:61], v77, s[16:17] offset:3360
	v_add_co_u32_e32 v0, vcc, s14, v0
	v_addc_co_u32_e32 v1, vcc, v1, v16, vcc
	s_movk_i32 s0, 0x2000
	v_add_co_u32_e32 v2, vcc, s0, v78
	v_addc_co_u32_e32 v3, vcc, 0, v79, vcc
	global_load_dwordx2 v[63:64], v[2:3], off offset:1048
	global_load_dwordx2 v[8:9], v[0:1], off
	s_load_dwordx2 s[12:13], s[4:5], 0x38
	s_load_dwordx4 s[8:11], s[2:3], 0x0
	s_movk_i32 s0, 0x69
	v_cmp_gt_u16_e64 s[0:1], s0, v80
	s_waitcnt vmcnt(9)
	v_mul_f32_e32 v2, v5, v72
	v_mul_f32_e32 v3, v4, v72
	v_fmac_f32_e32 v2, v4, v71
	v_fma_f32 v3, v5, v71, -v3
	s_waitcnt vmcnt(7)
	v_mul_f32_e32 v4, v7, v70
	v_mul_f32_e32 v5, v6, v70
	v_fmac_f32_e32 v4, v6, v69
	v_fma_f32 v5, v7, v69, -v5
	;; [unrolled: 5-line block ×3, first 2 shown]
	ds_write_b64 v77, v[4:5] offset:5880
	ds_write2_b64 v77, v[2:3], v[6:7] offset1:210
	s_waitcnt vmcnt(4)
	v_mul_f32_e32 v2, v12, v66
	v_fma_f32 v5, v13, v65, -v2
	s_waitcnt vmcnt(2)
	v_mul_f32_e32 v2, v15, v61
	v_mul_f32_e32 v3, v14, v61
	v_fmac_f32_e32 v2, v14, v60
	v_fma_f32 v3, v15, v60, -v3
	v_mul_f32_e32 v4, v13, v66
	ds_write_b64 v77, v[2:3] offset:3360
	s_waitcnt vmcnt(0)
	v_mul_f32_e32 v2, v9, v64
	v_mul_f32_e32 v3, v8, v64
	v_fmac_f32_e32 v4, v12, v65
	v_fmac_f32_e32 v2, v8, v63
	v_fma_f32 v3, v9, v63, -v3
	v_add_u32_e32 v6, 0x1d00, v77
	ds_write2_b64 v6, v[4:5], v[2:3] offset0:17 offset1:227
	s_and_saveexec_b64 s[2:3], s[0:1]
	s_cbranch_execz .LBB0_3
; %bb.2:
	v_mov_b32_e32 v2, s19
	v_add_co_u32_e32 v0, vcc, s18, v0
	v_addc_co_u32_e32 v1, vcc, v1, v2, vcc
	v_add_co_u32_e32 v4, vcc, 0x1000, v78
	v_addc_co_u32_e32 v5, vcc, 0, v79, vcc
	global_load_dwordx2 v[2:3], v[0:1], off
	v_mov_b32_e32 v6, s15
	v_add_co_u32_e32 v0, vcc, s14, v0
	v_addc_co_u32_e32 v1, vcc, v1, v6, vcc
	v_add_co_u32_e32 v6, vcc, 0x2000, v78
	global_load_dwordx2 v[4:5], v[4:5], off offset:944
	v_addc_co_u32_e32 v7, vcc, 0, v79, vcc
	global_load_dwordx2 v[6:7], v[6:7], off offset:2728
	s_waitcnt vmcnt(1)
	v_mul_f32_e32 v8, v3, v5
	global_load_dwordx2 v[0:1], v[0:1], off
	v_mul_f32_e32 v5, v2, v5
	v_fmac_f32_e32 v8, v2, v4
	v_fma_f32 v9, v3, v4, -v5
	ds_write_b64 v77, v[8:9] offset:5040
	s_waitcnt vmcnt(0)
	v_mul_f32_e32 v2, v1, v7
	v_mul_f32_e32 v3, v0, v7
	v_fmac_f32_e32 v2, v0, v6
	v_fma_f32 v3, v1, v6, -v3
	ds_write_b64 v77, v[2:3] offset:10920
.LBB0_3:
	s_or_b64 exec, exec, s[2:3]
	v_add_u32_e32 v4, 0x1600, v77
	s_waitcnt lgkmcnt(0)
	s_barrier
	ds_read2_b64 v[0:3], v77 offset1:210
	ds_read2_b64 v[4:7], v4 offset0:31 offset1:241
	ds_read_b64 v[8:9], v77 offset:3360
	ds_read_b64 v[12:13], v77 offset:9240
                                        ; implicit-def: $vgpr14
                                        ; implicit-def: $vgpr10
	s_and_saveexec_b64 s[2:3], s[0:1]
	s_cbranch_execz .LBB0_5
; %bb.4:
	ds_read_b64 v[10:11], v77 offset:5040
	ds_read_b64 v[14:15], v77 offset:10920
.LBB0_5:
	s_or_b64 exec, exec, s[2:3]
	s_load_dwordx2 s[14:15], s[4:5], 0x8
	s_movk_i32 s2, 0x1a4
	v_add_co_u32_e32 v16, vcc, s2, v80
	s_movk_i32 s2, 0x276
	s_waitcnt lgkmcnt(0)
	v_sub_f32_e32 v19, v0, v4
	v_add_co_u32_e32 v40, vcc, 0xd2, v80
	v_add_co_u32_e32 v21, vcc, s2, v80
	v_sub_f32_e32 v20, v1, v5
	v_fma_f32 v17, v0, 2.0, -v19
	v_sub_f32_e32 v4, v2, v6
	v_sub_f32_e32 v5, v3, v7
	;; [unrolled: 1-line block ×6, first 2 shown]
	v_lshlrev_b16_e32 v0, 1, v80
	v_fma_f32 v18, v1, 2.0, -v20
	v_fma_f32 v2, v2, 2.0, -v4
	;; [unrolled: 1-line block ×7, first 2 shown]
	v_lshlrev_b32_e32 v83, 3, v0
	v_lshlrev_b32_e32 v84, 4, v40
	;; [unrolled: 1-line block ×4, first 2 shown]
	s_barrier
	ds_write_b128 v83, v[17:20]
	ds_write_b128 v84, v[2:5]
	;; [unrolled: 1-line block ×3, first 2 shown]
	s_and_saveexec_b64 s[2:3], s[0:1]
	s_cbranch_execz .LBB0_7
; %bb.6:
	ds_write_b128 v82, v[22:25]
.LBB0_7:
	s_or_b64 exec, exec, s[2:3]
	v_add_u32_e32 v0, 0xe00, v77
	s_waitcnt lgkmcnt(0)
	s_barrier
	ds_read2_b64 v[4:7], v0 offset0:42 offset1:252
	v_add_u32_e32 v0, 0x1e00, v77
	ds_read2_b64 v[18:21], v77 offset1:210
	ds_read2_b64 v[8:11], v0 offset0:20 offset1:230
	s_movk_i32 s2, 0x46
	v_cmp_gt_u16_e64 s[2:3], s2, v80
                                        ; implicit-def: $vgpr12
	s_and_saveexec_b64 s[4:5], s[2:3]
	s_cbranch_execz .LBB0_9
; %bb.8:
	ds_read_b64 v[22:23], v77 offset:3360
	ds_read_b64 v[24:25], v77 offset:7280
	;; [unrolled: 1-line block ×3, first 2 shown]
.LBB0_9:
	s_or_b64 exec, exec, s[4:5]
	v_and_b32_e32 v81, 1, v80
	v_lshlrev_b32_e32 v0, 4, v81
	global_load_dwordx4 v[0:3], v0, s[14:15]
	v_lshrrev_b32_e32 v15, 1, v40
	v_lshrrev_b32_e32 v14, 1, v80
	v_mul_u32_u24_e32 v15, 6, v15
	v_mul_u32_u24_e32 v14, 6, v14
	v_or_b32_e32 v15, v15, v81
	v_or_b32_e32 v14, v14, v81
	v_lshlrev_b32_e32 v86, 3, v15
	v_lshlrev_b32_e32 v87, 3, v14
	v_lshrrev_b32_e32 v88, 1, v16
	s_waitcnt vmcnt(0) lgkmcnt(0)
	s_barrier
	v_mul_f32_e32 v15, v4, v1
	v_mul_f32_e32 v17, v9, v3
	;; [unrolled: 1-line block ×12, first 2 shown]
	v_fmac_f32_e32 v15, v5, v0
	v_fma_f32 v5, v8, v2, -v17
	v_fmac_f32_e32 v28, v7, v0
	v_fma_f32 v8, v10, v2, -v29
	v_fma_f32 v7, v24, v0, -v31
	v_fmac_f32_e32 v32, v25, v0
	v_fma_f32 v10, v12, v2, -v33
	v_fmac_f32_e32 v34, v13, v2
	;; [unrolled: 2-line block ×4, first 2 shown]
	v_add_f32_e32 v33, v7, v10
	v_sub_f32_e32 v35, v32, v34
	v_add_f32_e32 v36, v23, v32
	v_add_f32_e32 v32, v32, v34
	;; [unrolled: 1-line block ×7, first 2 shown]
	v_sub_f32_e32 v25, v28, v30
	v_add_f32_e32 v27, v21, v28
	v_add_f32_e32 v28, v28, v30
	;; [unrolled: 1-line block ×3, first 2 shown]
	v_fmac_f32_e32 v22, -0.5, v33
	v_fmac_f32_e32 v23, -0.5, v32
	v_sub_f32_e32 v14, v15, v26
	v_sub_f32_e32 v15, v4, v5
	v_add_f32_e32 v17, v20, v6
	v_sub_f32_e32 v31, v6, v8
	v_sub_f32_e32 v37, v7, v10
	v_add_f32_e32 v4, v9, v5
	v_fma_f32 v6, -0.5, v11, v18
	v_add_f32_e32 v5, v12, v26
	v_fma_f32 v7, -0.5, v13, v19
	v_fma_f32 v20, -0.5, v24, v20
	v_fmac_f32_e32 v21, -0.5, v28
	v_add_f32_e32 v26, v29, v10
	v_mov_b32_e32 v28, v22
	v_mov_b32_e32 v29, v23
	v_add_f32_e32 v9, v27, v30
	v_add_f32_e32 v27, v36, v34
	v_mov_b32_e32 v10, v6
	v_fmac_f32_e32 v6, 0xbf5db3d7, v14
	v_mov_b32_e32 v11, v7
	v_fmac_f32_e32 v7, 0x3f5db3d7, v15
	;; [unrolled: 2-line block ×4, first 2 shown]
	v_fmac_f32_e32 v22, 0xbf5db3d7, v35
	v_fmac_f32_e32 v23, 0x3f5db3d7, v37
	v_fmac_f32_e32 v28, 0x3f5db3d7, v35
	v_fmac_f32_e32 v29, 0xbf5db3d7, v37
	v_add_f32_e32 v8, v17, v8
	v_fmac_f32_e32 v10, 0x3f5db3d7, v14
	v_fmac_f32_e32 v11, 0xbf5db3d7, v15
	;; [unrolled: 1-line block ×4, first 2 shown]
	ds_write_b64 v87, v[6:7] offset:32
	ds_write2_b64 v87, v[4:5], v[10:11] offset1:2
	ds_write2_b64 v86, v[8:9], v[12:13] offset1:2
	ds_write_b64 v86, v[20:21] offset:32
	s_and_saveexec_b64 s[4:5], s[2:3]
	s_cbranch_execz .LBB0_11
; %bb.10:
	v_mul_u32_u24_e32 v4, 6, v88
	v_or_b32_e32 v4, v4, v81
	v_lshlrev_b32_e32 v4, 3, v4
	ds_write2_b64 v4, v[26:27], v[28:29] offset1:2
	ds_write_b64 v4, v[22:23] offset:32
.LBB0_11:
	s_or_b64 exec, exec, s[4:5]
	s_waitcnt lgkmcnt(0)
	s_barrier
	ds_read_b64 v[24:25], v77
	ds_read_b64 v[36:37], v77 offset:2352
	ds_read_b64 v[34:35], v77 offset:4704
	;; [unrolled: 1-line block ×4, first 2 shown]
	s_movk_i32 s4, 0x54
	v_cmp_gt_u16_e64 s[4:5], s4, v80
                                        ; implicit-def: $vgpr38
	s_and_saveexec_b64 s[18:19], s[4:5]
	s_cbranch_execz .LBB0_13
; %bb.12:
	ds_read_b64 v[20:21], v77 offset:1680
	ds_read_b64 v[26:27], v77 offset:4032
	;; [unrolled: 1-line block ×5, first 2 shown]
.LBB0_13:
	s_or_b64 exec, exec, s[18:19]
	s_movk_i32 s16, 0xab
	v_mul_lo_u16_sdwa v4, v80, s16 dst_sel:DWORD dst_unused:UNUSED_PAD src0_sel:BYTE_0 src1_sel:DWORD
	v_lshrrev_b16_e32 v48, 10, v4
	v_mul_lo_u16_e32 v4, 6, v48
	v_sub_u16_e32 v4, v80, v4
	v_and_b32_e32 v49, 0xff, v4
	v_lshlrev_b32_e32 v4, 5, v49
	s_mov_b32 s16, 0xaaab
	global_load_dwordx4 v[12:15], v4, s[14:15] offset:48
	global_load_dwordx4 v[16:19], v4, s[14:15] offset:32
	v_mul_u32_u24_sdwa v4, v40, s16 dst_sel:DWORD dst_unused:UNUSED_PAD src0_sel:WORD_0 src1_sel:DWORD
	v_lshrrev_b32_e32 v50, 18, v4
	v_mul_lo_u16_e32 v4, 6, v50
	v_sub_u16_e32 v51, v40, v4
	v_lshlrev_b16_e32 v4, 5, v51
	v_mov_b32_e32 v5, s15
	v_add_co_u32_e32 v40, vcc, s14, v4
	v_addc_co_u32_e32 v41, vcc, 0, v5, vcc
	global_load_dwordx4 v[8:11], v[40:41], off offset:32
	global_load_dwordx4 v[4:7], v[40:41], off offset:48
	v_mul_u32_u24_e32 v48, 30, v48
	v_add_lshl_u32 v90, v48, v49, 3
	v_mad_legacy_u16 v89, v50, 30, v51
	s_waitcnt vmcnt(0) lgkmcnt(0)
	s_barrier
	v_mul_f32_e32 v46, v33, v13
	v_mul_f32_e32 v45, v35, v19
	;; [unrolled: 1-line block ×6, first 2 shown]
	v_fma_f32 v34, v34, v18, -v45
	v_fma_f32 v32, v32, v12, -v46
	v_mul_f32_e32 v52, v36, v17
	v_mul_f32_e32 v55, v30, v15
	v_fma_f32 v36, v36, v16, -v44
	v_mul_f32_e32 v41, v28, v11
	v_mul_f32_e32 v56, v27, v9
	;; [unrolled: 1-line block ×7, first 2 shown]
	v_fma_f32 v30, v30, v14, -v47
	v_fmac_f32_e32 v41, v29, v10
	v_add_f32_e32 v29, v34, v32
	v_mul_f32_e32 v58, v23, v5
	v_fmac_f32_e32 v52, v37, v16
	v_fmac_f32_e32 v53, v35, v18
	v_fmac_f32_e32 v54, v33, v12
	v_fmac_f32_e32 v55, v31, v14
	v_fma_f32 v26, v26, v8, -v56
	v_fmac_f32_e32 v40, v27, v8
	v_fma_f32 v27, v28, v10, -v57
	v_fmac_f32_e32 v42, v23, v4
	v_fma_f32 v23, v38, v6, -v59
	v_fmac_f32_e32 v43, v39, v6
	v_add_f32_e32 v28, v24, v36
	v_sub_f32_e32 v35, v36, v34
	v_add_f32_e32 v38, v36, v30
	v_sub_f32_e32 v39, v34, v36
	v_sub_f32_e32 v56, v36, v30
	v_fma_f32 v36, -0.5, v29, v24
	v_sub_f32_e32 v31, v52, v55
	v_sub_f32_e32 v37, v30, v32
	v_add_f32_e32 v46, v53, v54
	v_fma_f32 v24, -0.5, v38, v24
	v_mov_b32_e32 v38, v36
	v_sub_f32_e32 v33, v53, v54
	v_sub_f32_e32 v44, v32, v30
	v_add_f32_e32 v45, v25, v52
	v_add_f32_e32 v28, v28, v34
	;; [unrolled: 1-line block ×3, first 2 shown]
	v_fma_f32 v37, -0.5, v46, v25
	v_fmac_f32_e32 v36, 0xbf737871, v31
	v_fmac_f32_e32 v38, 0x3f737871, v31
	v_sub_f32_e32 v57, v34, v32
	v_add_f32_e32 v34, v39, v44
	v_add_f32_e32 v35, v45, v53
	;; [unrolled: 1-line block ×3, first 2 shown]
	v_mov_b32_e32 v44, v24
	v_mov_b32_e32 v39, v37
	v_fmac_f32_e32 v36, 0xbf167918, v33
	v_fmac_f32_e32 v38, 0x3f167918, v33
	v_fma_f32 v22, v22, v4, -v58
	v_fmac_f32_e32 v24, 0x3f737871, v33
	v_add_f32_e32 v32, v35, v54
	v_add_f32_e32 v46, v28, v30
	v_fmac_f32_e32 v44, 0xbf737871, v33
	v_fmac_f32_e32 v39, 0xbf737871, v56
	v_fmac_f32_e32 v36, 0x3e9e377a, v29
	v_fmac_f32_e32 v38, 0x3e9e377a, v29
	v_sub_f32_e32 v28, v52, v53
	v_sub_f32_e32 v29, v55, v54
	v_fmac_f32_e32 v37, 0x3f737871, v56
	v_fmac_f32_e32 v24, 0xbf167918, v31
	v_add_f32_e32 v47, v32, v55
	v_fmac_f32_e32 v44, 0x3f167918, v31
	v_fmac_f32_e32 v39, 0xbf167918, v57
	v_add_f32_e32 v28, v28, v29
	v_fmac_f32_e32 v37, 0x3f167918, v57
	v_sub_f32_e32 v31, v26, v27
	v_sub_f32_e32 v32, v23, v22
	v_fmac_f32_e32 v39, 0x3e9e377a, v28
	v_fmac_f32_e32 v37, 0x3e9e377a, v28
	v_add_f32_e32 v28, v52, v55
	v_add_f32_e32 v31, v31, v32
	;; [unrolled: 1-line block ×3, first 2 shown]
	v_fmac_f32_e32 v25, -0.5, v28
	v_fma_f32 v75, -0.5, v32, v20
	v_mov_b32_e32 v45, v25
	v_sub_f32_e32 v28, v53, v52
	v_sub_f32_e32 v29, v54, v55
	;; [unrolled: 1-line block ×3, first 2 shown]
	v_mov_b32_e32 v52, v75
	v_fmac_f32_e32 v45, 0x3f737871, v57
	v_add_f32_e32 v28, v28, v29
	v_fmac_f32_e32 v25, 0xbf737871, v57
	v_sub_f32_e32 v29, v40, v43
	v_fmac_f32_e32 v52, 0xbf737871, v30
	v_sub_f32_e32 v32, v27, v26
	v_sub_f32_e32 v33, v22, v23
	v_fmac_f32_e32 v75, 0x3f737871, v30
	v_fmac_f32_e32 v45, 0xbf167918, v56
	v_fmac_f32_e32 v25, 0x3f167918, v56
	v_fmac_f32_e32 v52, 0x3f167918, v29
	v_add_f32_e32 v32, v32, v33
	v_fmac_f32_e32 v75, 0xbf167918, v29
	v_sub_f32_e32 v35, v40, v41
	v_sub_f32_e32 v53, v43, v42
	v_fmac_f32_e32 v45, 0x3e9e377a, v28
	v_fmac_f32_e32 v25, 0x3e9e377a, v28
	v_add_f32_e32 v28, v27, v22
	v_fmac_f32_e32 v52, 0x3e9e377a, v32
	v_fmac_f32_e32 v75, 0x3e9e377a, v32
	v_add_f32_e32 v32, v41, v42
	v_add_f32_e32 v35, v35, v53
	;; [unrolled: 1-line block ×3, first 2 shown]
	v_fma_f32 v28, -0.5, v28, v20
	v_fma_f32 v32, -0.5, v32, v21
	;; [unrolled: 1-line block ×3, first 2 shown]
	v_fmac_f32_e32 v24, 0x3e9e377a, v34
	v_fmac_f32_e32 v44, 0x3e9e377a, v34
	v_mov_b32_e32 v73, v28
	v_sub_f32_e32 v33, v26, v23
	v_sub_f32_e32 v34, v27, v22
	v_mov_b32_e32 v74, v32
	v_mov_b32_e32 v53, v76
	v_fmac_f32_e32 v73, 0xbf737871, v29
	v_fmac_f32_e32 v74, 0x3f737871, v33
	;; [unrolled: 1-line block ×3, first 2 shown]
	v_sub_f32_e32 v54, v41, v40
	v_sub_f32_e32 v55, v42, v43
	v_fmac_f32_e32 v76, 0xbf737871, v34
	v_fmac_f32_e32 v73, 0xbf167918, v30
	;; [unrolled: 1-line block ×4, first 2 shown]
	v_add_f32_e32 v54, v54, v55
	v_fmac_f32_e32 v76, 0x3f167918, v33
	v_fmac_f32_e32 v73, 0x3e9e377a, v31
	;; [unrolled: 1-line block ×5, first 2 shown]
	ds_write2_b64 v90, v[46:47], v[38:39] offset1:6
	ds_write2_b64 v90, v[44:45], v[24:25] offset0:12 offset1:18
	ds_write_b64 v90, v[36:37] offset:192
	s_and_saveexec_b64 s[18:19], s[4:5]
	s_cbranch_execz .LBB0_15
; %bb.14:
	v_mul_f32_e32 v24, 0x3f737871, v29
	v_mul_f32_e32 v25, 0x3f737871, v33
	v_add_f32_e32 v21, v21, v40
	v_add_f32_e32 v20, v20, v26
	v_mul_f32_e32 v29, 0x3f167918, v30
	v_mul_f32_e32 v30, 0x3e9e377a, v31
	;; [unrolled: 1-line block ×3, first 2 shown]
	v_sub_f32_e32 v25, v32, v25
	v_add_f32_e32 v24, v28, v24
	v_add_f32_e32 v21, v21, v41
	v_add_f32_e32 v20, v20, v27
	v_mul_f32_e32 v33, 0x3e9e377a, v35
	v_sub_f32_e32 v25, v25, v31
	v_add_f32_e32 v24, v29, v24
	v_add_f32_e32 v21, v21, v42
	;; [unrolled: 1-line block ×7, first 2 shown]
	v_lshlrev_b32_e32 v22, 3, v89
	ds_write2_b64 v22, v[20:21], v[24:25] offset1:6
	ds_write2_b64 v22, v[52:53], v[75:76] offset0:12 offset1:18
	ds_write_b64 v22, v[73:74] offset:192
.LBB0_15:
	s_or_b64 exec, exec, s[18:19]
	s_movk_i32 s16, 0x89
	v_mul_lo_u16_sdwa v20, v80, s16 dst_sel:DWORD dst_unused:UNUSED_PAD src0_sel:BYTE_0 src1_sel:DWORD
	v_lshrrev_b16_e32 v46, 12, v20
	v_mul_lo_u16_e32 v20, 30, v46
	v_sub_u16_e32 v20, v80, v20
	v_and_b32_e32 v47, 0xff, v20
	v_mad_u64_u32 v[32:33], s[18:19], v47, 48, s[14:15]
	s_waitcnt lgkmcnt(0)
	s_barrier
	global_load_dwordx4 v[28:31], v[32:33], off offset:224
	global_load_dwordx4 v[24:27], v[32:33], off offset:240
	global_load_dwordx4 v[20:23], v[32:33], off offset:256
	v_add_u32_e32 v92, 0xc00, v77
	v_add_u32_e32 v93, 0x1a00, v77
	ds_read2_b64 v[32:35], v77 offset1:210
	ds_read_b64 v[44:45], v77 offset:10080
	ds_read2_b64 v[36:39], v92 offset0:36 offset1:246
	ds_read2_b64 v[40:43], v93 offset0:8 offset1:218
	s_mov_b32 s18, 0x3f3bfb3b
	s_mov_b32 s19, 0xbf3bfb3b
	s_mov_b32 s16, 0x3f5ff5aa
	s_mov_b32 s20, 0xbeae86e6
	v_mul_u32_u24_e32 v46, 0xd2, v46
	s_waitcnt vmcnt(0) lgkmcnt(0)
	s_barrier
	v_mul_f32_e32 v48, v35, v29
	v_mul_f32_e32 v49, v34, v29
	;; [unrolled: 1-line block ×12, first 2 shown]
	v_fma_f32 v34, v34, v28, -v48
	v_fmac_f32_e32 v49, v35, v28
	v_fma_f32 v35, v36, v30, -v50
	v_fmac_f32_e32 v51, v37, v30
	;; [unrolled: 2-line block ×6, first 2 shown]
	v_add_f32_e32 v40, v34, v39
	v_add_f32_e32 v41, v49, v94
	;; [unrolled: 1-line block ×4, first 2 shown]
	v_sub_f32_e32 v34, v34, v39
	v_sub_f32_e32 v39, v49, v94
	v_add_f32_e32 v44, v36, v37
	v_add_f32_e32 v45, v55, v57
	;; [unrolled: 1-line block ×4, first 2 shown]
	v_sub_f32_e32 v35, v35, v38
	v_sub_f32_e32 v38, v51, v59
	v_sub_f32_e32 v36, v37, v36
	v_sub_f32_e32 v37, v57, v55
	v_sub_f32_e32 v50, v42, v40
	v_sub_f32_e32 v51, v43, v41
	v_sub_f32_e32 v40, v40, v44
	v_sub_f32_e32 v41, v41, v45
	v_sub_f32_e32 v42, v44, v42
	v_sub_f32_e32 v43, v45, v43
	v_add_f32_e32 v44, v44, v48
	v_add_f32_e32 v45, v45, v49
	;; [unrolled: 1-line block ×4, first 2 shown]
	v_sub_f32_e32 v56, v36, v35
	v_sub_f32_e32 v57, v37, v38
	;; [unrolled: 1-line block ×3, first 2 shown]
	v_mul_f32_e32 v40, 0x3f4a47b2, v40
	v_mul_f32_e32 v41, 0x3f4a47b2, v41
	;; [unrolled: 1-line block ×4, first 2 shown]
	v_add_f32_e32 v32, v32, v44
	v_add_f32_e32 v33, v33, v45
	v_sub_f32_e32 v36, v34, v36
	v_sub_f32_e32 v37, v39, v37
	;; [unrolled: 1-line block ×3, first 2 shown]
	v_add_f32_e32 v34, v54, v34
	v_add_f32_e32 v39, v55, v39
	v_mul_f32_e32 v54, 0xbf08b237, v56
	v_mul_f32_e32 v55, 0xbf08b237, v57
	;; [unrolled: 1-line block ×3, first 2 shown]
	v_fma_f32 v48, v50, s18, -v48
	v_fma_f32 v49, v51, s18, -v49
	;; [unrolled: 1-line block ×3, first 2 shown]
	v_fmac_f32_e32 v40, 0x3d64c772, v42
	v_fma_f32 v42, v51, s19, -v41
	v_mov_b32_e32 v51, v32
	v_mov_b32_e32 v58, v33
	v_mul_f32_e32 v57, 0x3f5ff5aa, v38
	v_fmac_f32_e32 v51, 0xbf955555, v44
	v_fmac_f32_e32 v58, 0xbf955555, v45
	;; [unrolled: 1-line block ×3, first 2 shown]
	v_fma_f32 v43, v35, s16, -v54
	v_fmac_f32_e32 v54, 0x3eae86e6, v36
	v_fma_f32 v44, v38, s16, -v55
	v_fmac_f32_e32 v55, 0x3eae86e6, v37
	v_fma_f32 v45, v36, s20, -v56
	v_fma_f32 v56, v37, s20, -v57
	v_add_f32_e32 v57, v40, v51
	v_add_f32_e32 v59, v41, v58
	;; [unrolled: 1-line block ×5, first 2 shown]
	v_fmac_f32_e32 v54, 0x3ee1c552, v34
	v_fmac_f32_e32 v55, 0x3ee1c552, v39
	;; [unrolled: 1-line block ×5, first 2 shown]
	v_add_f32_e32 v48, v50, v51
	v_fmac_f32_e32 v56, 0x3ee1c552, v39
	v_add_f32_e32 v34, v55, v57
	v_sub_f32_e32 v35, v59, v54
	v_sub_f32_e32 v37, v49, v45
	;; [unrolled: 1-line block ×3, first 2 shown]
	v_add_f32_e32 v39, v43, v41
	v_add_f32_e32 v40, v44, v40
	v_sub_f32_e32 v41, v41, v43
	v_add_f32_e32 v43, v45, v49
	v_sub_f32_e32 v44, v57, v55
	v_add_f32_e32 v45, v54, v59
	v_add_lshl_u32 v91, v46, v47, 3
	v_add_f32_e32 v36, v56, v48
	v_sub_f32_e32 v42, v48, v56
	ds_write2_b64 v91, v[32:33], v[34:35] offset1:30
	ds_write2_b64 v91, v[36:37], v[38:39] offset0:60 offset1:90
	ds_write2_b64 v91, v[40:41], v[42:43] offset0:120 offset1:150
	ds_write_b64 v91, v[44:45] offset:1440
	v_mad_u64_u32 v[44:45], s[14:15], v80, 48, s[14:15]
	s_waitcnt lgkmcnt(0)
	s_barrier
	global_load_dwordx4 v[40:43], v[44:45], off offset:1664
	global_load_dwordx4 v[36:39], v[44:45], off offset:1680
	;; [unrolled: 1-line block ×3, first 2 shown]
	v_mov_b32_e32 v48, s17
	ds_read2_b64 v[44:47], v77 offset1:210
	v_addc_co_u32_e64 v100, vcc, 0, v48, s[6:7]
	ds_read2_b64 v[48:51], v92 offset0:36 offset1:246
	ds_read2_b64 v[54:57], v93 offset0:8 offset1:218
	ds_read_b64 v[58:59], v77 offset:10080
	s_movk_i32 s6, 0x2000
	s_movk_i32 s7, 0x4000
	s_waitcnt vmcnt(2) lgkmcnt(3)
	v_mul_f32_e32 v94, v47, v41
	v_mul_f32_e32 v95, v46, v41
	s_waitcnt lgkmcnt(2)
	v_mul_f32_e32 v96, v49, v43
	s_waitcnt vmcnt(1)
	v_mul_f32_e32 v98, v51, v37
	v_mul_f32_e32 v99, v50, v37
	s_waitcnt vmcnt(0) lgkmcnt(1)
	v_mul_f32_e32 v103, v57, v33
	s_waitcnt lgkmcnt(0)
	v_mul_f32_e32 v105, v59, v35
	v_mul_f32_e32 v97, v48, v43
	;; [unrolled: 1-line block ×5, first 2 shown]
	v_fma_f32 v46, v46, v40, -v94
	v_fmac_f32_e32 v95, v47, v40
	v_fma_f32 v47, v48, v42, -v96
	v_fma_f32 v48, v50, v36, -v98
	v_fmac_f32_e32 v99, v51, v36
	v_fma_f32 v50, v56, v32, -v103
	v_fma_f32 v51, v58, v34, -v105
	v_mul_f32_e32 v102, v54, v39
	v_fmac_f32_e32 v97, v49, v42
	v_fma_f32 v49, v54, v38, -v101
	v_fmac_f32_e32 v104, v57, v32
	v_fmac_f32_e32 v106, v59, v34
	v_add_f32_e32 v54, v46, v51
	v_add_f32_e32 v56, v47, v50
	v_fmac_f32_e32 v102, v55, v38
	v_add_f32_e32 v55, v95, v106
	v_add_f32_e32 v57, v97, v104
	;; [unrolled: 1-line block ×4, first 2 shown]
	v_sub_f32_e32 v46, v46, v51
	v_sub_f32_e32 v51, v95, v106
	v_add_f32_e32 v59, v99, v102
	v_add_f32_e32 v95, v57, v55
	v_sub_f32_e32 v96, v56, v54
	v_sub_f32_e32 v54, v54, v58
	;; [unrolled: 1-line block ×3, first 2 shown]
	v_add_f32_e32 v58, v58, v94
	v_sub_f32_e32 v47, v47, v50
	v_sub_f32_e32 v50, v97, v104
	v_sub_f32_e32 v48, v49, v48
	v_sub_f32_e32 v49, v102, v99
	v_sub_f32_e32 v97, v57, v55
	v_sub_f32_e32 v55, v55, v59
	v_sub_f32_e32 v57, v59, v57
	v_add_f32_e32 v59, v59, v95
	v_add_f32_e32 v44, v44, v58
	;; [unrolled: 1-line block ×4, first 2 shown]
	v_sub_f32_e32 v101, v48, v47
	v_sub_f32_e32 v102, v49, v50
	v_add_f32_e32 v45, v45, v59
	v_mov_b32_e32 v103, v44
	v_sub_f32_e32 v48, v46, v48
	v_sub_f32_e32 v49, v51, v49
	;; [unrolled: 1-line block ×4, first 2 shown]
	v_add_f32_e32 v46, v98, v46
	v_add_f32_e32 v51, v99, v51
	v_mul_f32_e32 v54, 0x3f4a47b2, v54
	v_mul_f32_e32 v55, 0x3f4a47b2, v55
	v_mul_f32_e32 v94, 0x3d64c772, v56
	v_mul_f32_e32 v95, 0x3d64c772, v57
	v_mul_f32_e32 v98, 0xbf08b237, v101
	v_mul_f32_e32 v99, 0xbf08b237, v102
	v_fmac_f32_e32 v103, 0xbf955555, v58
	v_mov_b32_e32 v58, v45
	v_mul_f32_e32 v101, 0x3f5ff5aa, v47
	v_mul_f32_e32 v102, 0x3f5ff5aa, v50
	v_fmac_f32_e32 v58, 0xbf955555, v59
	v_fma_f32 v59, v96, s18, -v94
	v_fma_f32 v94, v97, s18, -v95
	;; [unrolled: 1-line block ×3, first 2 shown]
	v_fmac_f32_e32 v54, 0x3d64c772, v56
	v_fma_f32 v56, v97, s19, -v55
	v_fmac_f32_e32 v55, 0x3d64c772, v57
	v_fma_f32 v57, v47, s16, -v98
	;; [unrolled: 2-line block ×4, first 2 shown]
	v_fma_f32 v101, v49, s20, -v102
	v_add_f32_e32 v54, v54, v103
	v_add_f32_e32 v55, v55, v58
	v_fmac_f32_e32 v98, 0x3ee1c552, v46
	v_fmac_f32_e32 v99, 0x3ee1c552, v51
	v_add_f32_e32 v59, v59, v103
	v_add_f32_e32 v94, v94, v58
	;; [unrolled: 1-line block ×4, first 2 shown]
	v_fmac_f32_e32 v57, 0x3ee1c552, v46
	v_fmac_f32_e32 v96, 0x3ee1c552, v51
	;; [unrolled: 1-line block ×4, first 2 shown]
	v_add_f32_e32 v46, v99, v54
	v_sub_f32_e32 v47, v55, v98
	v_add_f32_e32 v48, v101, v95
	v_sub_f32_e32 v49, v102, v97
	v_sub_f32_e32 v50, v59, v96
	v_add_f32_e32 v51, v57, v94
	v_add_f32_e32 v56, v96, v59
	v_sub_f32_e32 v57, v94, v57
	v_sub_f32_e32 v58, v95, v101
	v_add_f32_e32 v59, v97, v102
	v_sub_f32_e32 v54, v54, v99
	v_add_f32_e32 v55, v98, v55
	ds_write2_b64 v77, v[44:45], v[46:47] offset1:210
	ds_write2_b64 v92, v[48:49], v[50:51] offset0:36 offset1:246
	ds_write2_b64 v93, v[56:57], v[58:59] offset0:8 offset1:218
	ds_write_b64 v77, v[54:55] offset:10080
	v_add_co_u32_e32 v44, vcc, s6, v78
	v_addc_co_u32_e32 v45, vcc, 0, v100, vcc
	s_waitcnt lgkmcnt(0)
	s_barrier
	global_load_dwordx2 v[56:57], v[44:45], off offset:3568
	v_add_co_u32_e32 v46, vcc, s7, v78
	v_addc_co_u32_e32 v47, vcc, 0, v100, vcc
	global_load_dwordx2 v[92:93], v[46:47], off offset:1256
	s_movk_i32 s6, 0x2df0
	v_add_co_u32_e32 v44, vcc, s6, v78
	v_addc_co_u32_e32 v45, vcc, 0, v100, vcc
	global_load_dwordx2 v[94:95], v[44:45], off offset:1680
	global_load_dwordx2 v[96:97], v[46:47], off offset:2936
	;; [unrolled: 1-line block ×3, first 2 shown]
	v_add_co_u32_e32 v46, vcc, 0x5000, v78
	v_addc_co_u32_e32 v47, vcc, 0, v100, vcc
	global_load_dwordx2 v[100:101], v[46:47], off offset:520
	ds_read2_b64 v[47:50], v77 offset1:210
	s_waitcnt vmcnt(5) lgkmcnt(0)
	v_mul_f32_e32 v46, v48, v57
	v_fma_f32 v46, v47, v56, -v46
	v_mul_f32_e32 v47, v47, v57
	v_fmac_f32_e32 v47, v48, v56
	ds_write_b64 v77, v[46:47]
	v_add_u32_e32 v48, 0x1600, v77
	ds_read2_b64 v[56:59], v48 offset0:31 offset1:241
	s_waitcnt vmcnt(3)
	v_mul_f32_e32 v51, v50, v95
	s_waitcnt lgkmcnt(0)
	v_mul_f32_e32 v47, v56, v93
	v_mul_f32_e32 v46, v57, v93
	v_fmac_f32_e32 v47, v57, v92
	v_mul_f32_e32 v57, v49, v95
	v_fma_f32 v46, v56, v92, -v46
	v_fma_f32 v56, v49, v94, -v51
	v_fmac_f32_e32 v57, v50, v94
	s_waitcnt vmcnt(2)
	v_mul_f32_e32 v49, v59, v97
	ds_read_b64 v[92:93], v77 offset:3360
	v_mul_f32_e32 v50, v58, v97
	v_fma_f32 v49, v58, v96, -v49
	v_fmac_f32_e32 v50, v59, v96
	ds_write2_b64 v48, v[46:47], v[49:50] offset0:31 offset1:241
	ds_read_b64 v[46:47], v77 offset:9240
	s_waitcnt vmcnt(1) lgkmcnt(2)
	v_mul_f32_e32 v49, v93, v99
	v_mul_f32_e32 v50, v92, v99
	v_fma_f32 v49, v92, v98, -v49
	v_fmac_f32_e32 v50, v93, v98
	v_add_u32_e32 v51, 0x600, v77
	ds_write2_b64 v51, v[56:57], v[49:50] offset0:18 offset1:228
	s_waitcnt vmcnt(0) lgkmcnt(1)
	v_mul_f32_e32 v49, v47, v101
	v_mul_f32_e32 v50, v46, v101
	v_fma_f32 v49, v46, v100, -v49
	v_fmac_f32_e32 v50, v47, v100
	ds_write_b64 v77, v[49:50] offset:9240
	s_and_saveexec_b64 s[6:7], s[0:1]
	s_cbranch_execz .LBB0_17
; %bb.16:
	v_add_co_u32_e32 v46, vcc, 0x1000, v44
	v_addc_co_u32_e32 v47, vcc, 0, v45, vcc
	v_add_co_u32_e32 v44, vcc, 0x2000, v44
	global_load_dwordx2 v[46:47], v[46:47], off offset:944
	v_addc_co_u32_e32 v45, vcc, 0, v45, vcc
	global_load_dwordx2 v[44:45], v[44:45], off offset:2728
	ds_read_b64 v[49:50], v77 offset:5040
	ds_read_b64 v[56:57], v77 offset:10920
	s_waitcnt vmcnt(1) lgkmcnt(1)
	v_mul_f32_e32 v51, v50, v47
	v_mul_f32_e32 v59, v49, v47
	v_fma_f32 v58, v49, v46, -v51
	v_fmac_f32_e32 v59, v50, v46
	s_waitcnt vmcnt(0) lgkmcnt(0)
	v_mul_f32_e32 v47, v57, v45
	v_mul_f32_e32 v46, v56, v45
	v_fma_f32 v45, v56, v44, -v47
	v_fmac_f32_e32 v46, v57, v44
	ds_write_b64 v77, v[58:59] offset:5040
	ds_write_b64 v77, v[45:46] offset:10920
.LBB0_17:
	s_or_b64 exec, exec, s[6:7]
	s_waitcnt lgkmcnt(0)
	s_barrier
	ds_read2_b64 v[44:47], v77 offset1:210
	ds_read2_b64 v[48:51], v48 offset0:31 offset1:241
	ds_read_b64 v[56:57], v77 offset:3360
	ds_read_b64 v[58:59], v77 offset:9240
	s_and_saveexec_b64 s[6:7], s[0:1]
	s_cbranch_execz .LBB0_19
; %bb.18:
	ds_read_b64 v[54:55], v77 offset:5040
	ds_read_b64 v[52:53], v77 offset:10920
.LBB0_19:
	s_or_b64 exec, exec, s[6:7]
	s_waitcnt lgkmcnt(2)
	v_sub_f32_e32 v94, v44, v48
	v_sub_f32_e32 v95, v45, v49
	;; [unrolled: 1-line block ×4, first 2 shown]
	s_waitcnt lgkmcnt(0)
	v_sub_f32_e32 v50, v54, v52
	v_sub_f32_e32 v51, v55, v53
	v_fma_f32 v92, v44, 2.0, -v94
	v_fma_f32 v93, v45, 2.0, -v95
	v_fma_f32 v96, v46, 2.0, -v98
	v_fma_f32 v97, v47, 2.0, -v99
	v_sub_f32_e32 v46, v56, v58
	v_sub_f32_e32 v47, v57, v59
	v_fma_f32 v48, v54, 2.0, -v50
	v_fma_f32 v49, v55, 2.0, -v51
	;; [unrolled: 1-line block ×4, first 2 shown]
	s_barrier
	ds_write_b128 v83, v[92:95]
	ds_write_b128 v84, v[96:99]
	ds_write_b128 v85, v[44:47]
	s_and_saveexec_b64 s[6:7], s[0:1]
	s_cbranch_execz .LBB0_21
; %bb.20:
	ds_write_b128 v82, v[48:51]
.LBB0_21:
	s_or_b64 exec, exec, s[6:7]
	v_add_u32_e32 v52, 0xe00, v77
	s_waitcnt lgkmcnt(0)
	s_barrier
	ds_read2_b64 v[56:59], v52 offset0:42 offset1:252
	v_add_u32_e32 v52, 0x1e00, v77
	ds_read2_b64 v[44:47], v77 offset1:210
	ds_read2_b64 v[52:55], v52 offset0:20 offset1:230
	s_and_saveexec_b64 s[6:7], s[2:3]
	s_cbranch_execz .LBB0_23
; %bb.22:
	ds_read_b64 v[48:49], v77 offset:3360
	ds_read_b64 v[50:51], v77 offset:7280
	;; [unrolled: 1-line block ×3, first 2 shown]
.LBB0_23:
	s_or_b64 exec, exec, s[6:7]
	s_waitcnt lgkmcnt(2)
	v_mul_f32_e32 v82, v1, v57
	v_fmac_f32_e32 v82, v0, v56
	v_mul_f32_e32 v56, v1, v56
	v_fma_f32 v56, v0, v57, -v56
	s_waitcnt lgkmcnt(0)
	v_mul_f32_e32 v57, v3, v53
	v_fmac_f32_e32 v57, v2, v52
	v_mul_f32_e32 v52, v3, v52
	v_fma_f32 v53, v2, v53, -v52
	v_mul_f32_e32 v83, v1, v59
	v_mul_f32_e32 v52, v1, v58
	;; [unrolled: 1-line block ×4, first 2 shown]
	v_fmac_f32_e32 v83, v0, v58
	v_fma_f32 v58, v0, v59, -v52
	v_fmac_f32_e32 v85, v0, v50
	v_fma_f32 v92, v0, v51, -v1
	v_mul_f32_e32 v0, v3, v75
	v_mul_f32_e32 v59, v3, v55
	;; [unrolled: 1-line block ×4, first 2 shown]
	v_fma_f32 v3, v2, v76, -v0
	v_add_f32_e32 v0, v44, v82
	v_add_f32_e32 v50, v0, v57
	;; [unrolled: 1-line block ×3, first 2 shown]
	v_fma_f32 v44, -0.5, v0, v44
	v_fma_f32 v84, v2, v55, -v52
	v_sub_f32_e32 v0, v56, v53
	v_mov_b32_e32 v52, v44
	v_fmac_f32_e32 v52, 0xbf5db3d7, v0
	v_fmac_f32_e32 v44, 0x3f5db3d7, v0
	v_add_f32_e32 v0, v45, v56
	v_add_f32_e32 v51, v0, v53
	;; [unrolled: 1-line block ×3, first 2 shown]
	v_fma_f32 v45, -0.5, v0, v45
	v_sub_f32_e32 v0, v82, v57
	v_mov_b32_e32 v53, v45
	v_fmac_f32_e32 v59, v2, v54
	v_fmac_f32_e32 v53, 0x3f5db3d7, v0
	;; [unrolled: 1-line block ×3, first 2 shown]
	v_add_f32_e32 v0, v46, v83
	v_add_f32_e32 v54, v0, v59
	;; [unrolled: 1-line block ×3, first 2 shown]
	v_fma_f32 v46, -0.5, v0, v46
	v_sub_f32_e32 v0, v58, v84
	v_mov_b32_e32 v56, v46
	v_fmac_f32_e32 v56, 0xbf5db3d7, v0
	v_fmac_f32_e32 v46, 0x3f5db3d7, v0
	v_add_f32_e32 v0, v47, v58
	v_add_f32_e32 v55, v0, v84
	;; [unrolled: 1-line block ×3, first 2 shown]
	v_fmac_f32_e32 v93, v2, v75
	v_fmac_f32_e32 v47, -0.5, v0
	v_sub_f32_e32 v0, v83, v59
	v_mov_b32_e32 v57, v47
	v_add_f32_e32 v1, v85, v93
	v_fmac_f32_e32 v57, 0x3f5db3d7, v0
	v_fmac_f32_e32 v47, 0xbf5db3d7, v0
	v_add_f32_e32 v0, v85, v48
	v_fmac_f32_e32 v48, -0.5, v1
	v_sub_f32_e32 v1, v92, v3
	v_mov_b32_e32 v2, v48
	v_fmac_f32_e32 v2, 0xbf5db3d7, v1
	v_fmac_f32_e32 v48, 0x3f5db3d7, v1
	v_add_f32_e32 v1, v92, v49
	v_add_f32_e32 v1, v3, v1
	;; [unrolled: 1-line block ×3, first 2 shown]
	v_fmac_f32_e32 v49, -0.5, v3
	v_sub_f32_e32 v58, v85, v93
	v_mov_b32_e32 v3, v49
	v_add_f32_e32 v0, v0, v93
	v_fmac_f32_e32 v3, 0x3f5db3d7, v58
	v_fmac_f32_e32 v49, 0xbf5db3d7, v58
	s_barrier
	ds_write2_b64 v87, v[50:51], v[52:53] offset1:2
	ds_write_b64 v87, v[44:45] offset:32
	ds_write2_b64 v86, v[54:55], v[56:57] offset1:2
	ds_write_b64 v86, v[46:47] offset:32
	s_and_saveexec_b64 s[6:7], s[2:3]
	s_cbranch_execz .LBB0_25
; %bb.24:
	v_mul_u32_u24_e32 v44, 6, v88
	v_or_b32_e32 v44, v44, v81
	v_lshlrev_b32_e32 v44, 3, v44
	ds_write2_b64 v44, v[0:1], v[2:3] offset1:2
	ds_write_b64 v44, v[48:49] offset:32
.LBB0_25:
	s_or_b64 exec, exec, s[6:7]
	s_waitcnt lgkmcnt(0)
	s_barrier
	ds_read_b64 v[44:45], v77
	ds_read_b64 v[56:57], v77 offset:2352
	ds_read_b64 v[54:55], v77 offset:4704
	;; [unrolled: 1-line block ×4, first 2 shown]
	s_and_saveexec_b64 s[2:3], s[4:5]
	s_cbranch_execz .LBB0_27
; %bb.26:
	ds_read_b64 v[46:47], v77 offset:1680
	ds_read_b64 v[0:1], v77 offset:4032
	;; [unrolled: 1-line block ×5, first 2 shown]
.LBB0_27:
	s_or_b64 exec, exec, s[2:3]
	s_waitcnt lgkmcnt(3)
	v_mul_f32_e32 v58, v17, v57
	v_mul_f32_e32 v17, v17, v56
	v_fmac_f32_e32 v58, v16, v56
	v_fma_f32 v56, v16, v57, -v17
	s_waitcnt lgkmcnt(2)
	v_mul_f32_e32 v57, v19, v55
	v_mul_f32_e32 v16, v19, v54
	s_waitcnt lgkmcnt(1)
	v_mul_f32_e32 v19, v13, v53
	v_fmac_f32_e32 v57, v18, v54
	v_fmac_f32_e32 v19, v12, v52
	v_mul_f32_e32 v13, v13, v52
	v_fma_f32 v52, v12, v53, -v13
	s_waitcnt lgkmcnt(0)
	v_mul_f32_e32 v17, v15, v51
	v_mul_f32_e32 v12, v15, v50
	v_add_f32_e32 v13, v57, v19
	v_fmac_f32_e32 v17, v14, v50
	v_fma_f32 v50, v14, v51, -v12
	v_fma_f32 v14, -0.5, v13, v44
	v_fma_f32 v54, v18, v55, -v16
	v_sub_f32_e32 v13, v56, v50
	v_mov_b32_e32 v16, v14
	v_fmac_f32_e32 v16, 0xbf737871, v13
	v_sub_f32_e32 v15, v54, v52
	v_sub_f32_e32 v18, v58, v57
	;; [unrolled: 1-line block ×3, first 2 shown]
	v_fmac_f32_e32 v14, 0x3f737871, v13
	v_fmac_f32_e32 v16, 0xbf167918, v15
	v_add_f32_e32 v18, v18, v51
	v_fmac_f32_e32 v14, 0x3f167918, v15
	v_fmac_f32_e32 v16, 0x3e9e377a, v18
	;; [unrolled: 1-line block ×3, first 2 shown]
	v_add_f32_e32 v18, v58, v17
	v_add_f32_e32 v12, v44, v58
	v_fma_f32 v44, -0.5, v18, v44
	v_mov_b32_e32 v18, v44
	v_add_f32_e32 v12, v12, v57
	v_fmac_f32_e32 v18, 0x3f737871, v15
	v_sub_f32_e32 v51, v57, v58
	v_sub_f32_e32 v53, v19, v17
	v_fmac_f32_e32 v44, 0xbf737871, v15
	v_add_f32_e32 v15, v54, v52
	v_add_f32_e32 v12, v12, v19
	v_fmac_f32_e32 v18, 0xbf167918, v13
	v_add_f32_e32 v51, v51, v53
	v_fmac_f32_e32 v44, 0x3f167918, v13
	v_fma_f32 v15, -0.5, v15, v45
	v_add_f32_e32 v12, v12, v17
	v_fmac_f32_e32 v18, 0x3e9e377a, v51
	v_fmac_f32_e32 v44, 0x3e9e377a, v51
	v_sub_f32_e32 v51, v58, v17
	v_mov_b32_e32 v17, v15
	v_fmac_f32_e32 v17, 0x3f737871, v51
	v_sub_f32_e32 v53, v57, v19
	v_sub_f32_e32 v19, v56, v54
	;; [unrolled: 1-line block ×3, first 2 shown]
	v_fmac_f32_e32 v15, 0xbf737871, v51
	v_fmac_f32_e32 v17, 0x3f167918, v53
	v_add_f32_e32 v19, v19, v55
	v_fmac_f32_e32 v15, 0xbf167918, v53
	v_add_f32_e32 v13, v45, v56
	v_fmac_f32_e32 v17, 0x3e9e377a, v19
	v_fmac_f32_e32 v15, 0x3e9e377a, v19
	v_add_f32_e32 v19, v56, v50
	v_add_f32_e32 v13, v13, v54
	v_fmac_f32_e32 v45, -0.5, v19
	v_add_f32_e32 v13, v13, v52
	v_mov_b32_e32 v19, v45
	v_add_f32_e32 v13, v13, v50
	v_fmac_f32_e32 v19, 0xbf737871, v53
	v_sub_f32_e32 v54, v54, v56
	v_sub_f32_e32 v50, v52, v50
	v_fmac_f32_e32 v45, 0x3f737871, v53
	v_fmac_f32_e32 v19, 0x3f167918, v51
	v_add_f32_e32 v50, v54, v50
	v_fmac_f32_e32 v45, 0xbf167918, v51
	v_fmac_f32_e32 v19, 0x3e9e377a, v50
	;; [unrolled: 1-line block ×3, first 2 shown]
	s_barrier
	ds_write2_b64 v90, v[12:13], v[16:17] offset1:6
	ds_write2_b64 v90, v[18:19], v[44:45] offset0:12 offset1:18
	ds_write_b64 v90, v[14:15] offset:192
	s_and_saveexec_b64 s[2:3], s[4:5]
	s_cbranch_execz .LBB0_29
; %bb.28:
	v_mul_f32_e32 v12, v9, v0
	v_mul_f32_e32 v13, v11, v2
	;; [unrolled: 1-line block ×4, first 2 shown]
	v_fma_f32 v12, v8, v1, -v12
	v_fma_f32 v13, v10, v3, -v13
	;; [unrolled: 1-line block ×4, first 2 shown]
	v_sub_f32_e32 v14, v12, v13
	v_sub_f32_e32 v17, v15, v16
	v_add_f32_e32 v14, v17, v14
	v_mul_f32_e32 v11, v11, v3
	v_mul_f32_e32 v17, v9, v1
	v_fmac_f32_e32 v11, v10, v2
	v_mul_f32_e32 v10, v5, v49
	v_fmac_f32_e32 v17, v8, v0
	v_mul_f32_e32 v8, v7, v74
	v_add_f32_e32 v0, v13, v16
	v_sub_f32_e32 v5, v13, v12
	v_sub_f32_e32 v7, v16, v15
	v_fmac_f32_e32 v8, v6, v73
	v_fma_f32 v1, -0.5, v0, v47
	v_add_f32_e32 v9, v7, v5
	v_add_f32_e32 v5, v15, v12
	v_fmac_f32_e32 v10, v4, v48
	v_sub_f32_e32 v6, v17, v8
	v_mov_b32_e32 v3, v1
	v_fma_f32 v5, -0.5, v5, v47
	v_sub_f32_e32 v4, v11, v10
	v_fmac_f32_e32 v3, 0x3f737871, v6
	v_mov_b32_e32 v7, v5
	v_fmac_f32_e32 v1, 0xbf737871, v6
	v_fmac_f32_e32 v3, 0x3f167918, v4
	;; [unrolled: 1-line block ×5, first 2 shown]
	v_add_f32_e32 v4, v47, v12
	v_add_f32_e32 v4, v13, v4
	v_fmac_f32_e32 v7, 0xbf167918, v6
	v_fmac_f32_e32 v5, 0x3f167918, v6
	v_add_f32_e32 v4, v16, v4
	v_fmac_f32_e32 v7, 0x3e9e377a, v9
	v_fmac_f32_e32 v5, 0x3e9e377a, v9
	v_add_f32_e32 v9, v15, v4
	v_sub_f32_e32 v4, v11, v17
	v_sub_f32_e32 v6, v10, v8
	v_sub_f32_e32 v19, v12, v15
	v_add_f32_e32 v12, v6, v4
	v_add_f32_e32 v4, v8, v17
	v_fma_f32 v4, -0.5, v4, v46
	v_sub_f32_e32 v0, v17, v11
	v_sub_f32_e32 v2, v8, v10
	;; [unrolled: 1-line block ×3, first 2 shown]
	v_mov_b32_e32 v6, v4
	v_add_f32_e32 v18, v2, v0
	v_add_f32_e32 v0, v11, v10
	v_fmac_f32_e32 v6, 0xbf737871, v44
	v_fmac_f32_e32 v4, 0x3f737871, v44
	v_fma_f32 v0, -0.5, v0, v46
	v_fmac_f32_e32 v6, 0x3f167918, v19
	v_fmac_f32_e32 v4, 0xbf167918, v19
	v_mov_b32_e32 v2, v0
	v_fmac_f32_e32 v6, 0x3e9e377a, v12
	v_fmac_f32_e32 v4, 0x3e9e377a, v12
	v_add_f32_e32 v12, v46, v17
	v_fmac_f32_e32 v2, 0xbf737871, v19
	v_add_f32_e32 v11, v11, v12
	v_fmac_f32_e32 v2, 0xbf167918, v44
	v_fmac_f32_e32 v0, 0x3f737871, v19
	v_add_f32_e32 v10, v10, v11
	v_fmac_f32_e32 v3, 0x3e9e377a, v14
	v_fmac_f32_e32 v2, 0x3e9e377a, v18
	;; [unrolled: 1-line block ×3, first 2 shown]
	v_add_f32_e32 v8, v8, v10
	v_lshlrev_b32_e32 v10, 3, v89
	v_fmac_f32_e32 v1, 0x3e9e377a, v14
	v_fmac_f32_e32 v0, 0x3e9e377a, v18
	ds_write2_b64 v10, v[8:9], v[2:3] offset1:6
	ds_write2_b64 v10, v[4:5], v[6:7] offset0:12 offset1:18
	ds_write_b64 v10, v[0:1] offset:192
.LBB0_29:
	s_or_b64 exec, exec, s[2:3]
	s_waitcnt lgkmcnt(0)
	s_barrier
	ds_read2_b64 v[0:3], v77 offset1:210
	v_add_u32_e32 v14, 0xc00, v77
	ds_read2_b64 v[4:7], v14 offset0:36 offset1:246
	v_add_u32_e32 v15, 0x1a00, v77
	ds_read2_b64 v[8:11], v15 offset0:8 offset1:218
	ds_read_b64 v[12:13], v77 offset:10080
	s_waitcnt lgkmcnt(3)
	v_mul_f32_e32 v16, v29, v3
	v_fmac_f32_e32 v16, v28, v2
	v_mul_f32_e32 v2, v29, v2
	v_fma_f32 v2, v28, v3, -v2
	s_waitcnt lgkmcnt(2)
	v_mul_f32_e32 v3, v31, v5
	v_fmac_f32_e32 v3, v30, v4
	v_mul_f32_e32 v4, v31, v4
	v_fma_f32 v4, v30, v5, -v4
	v_mul_f32_e32 v5, v25, v7
	v_fmac_f32_e32 v5, v24, v6
	v_mul_f32_e32 v6, v25, v6
	v_fma_f32 v6, v24, v7, -v6
	s_waitcnt lgkmcnt(1)
	v_mul_f32_e32 v7, v27, v9
	v_fmac_f32_e32 v7, v26, v8
	v_mul_f32_e32 v8, v27, v8
	v_fma_f32 v8, v26, v9, -v8
	;; [unrolled: 9-line block ×3, first 2 shown]
	v_add_f32_e32 v13, v16, v11
	v_add_f32_e32 v17, v2, v12
	v_sub_f32_e32 v2, v2, v12
	v_add_f32_e32 v12, v3, v9
	v_sub_f32_e32 v11, v16, v11
	;; [unrolled: 2-line block ×6, first 2 shown]
	v_add_f32_e32 v8, v16, v17
	v_add_f32_e32 v7, v9, v7
	v_add_f32_e32 v8, v10, v8
	v_add_f32_e32 v0, v0, v7
	v_sub_f32_e32 v18, v12, v13
	v_sub_f32_e32 v19, v16, v17
	;; [unrolled: 1-line block ×6, first 2 shown]
	v_add_f32_e32 v20, v5, v3
	v_add_f32_e32 v21, v6, v4
	v_sub_f32_e32 v22, v5, v3
	v_sub_f32_e32 v23, v6, v4
	v_sub_f32_e32 v3, v3, v11
	v_sub_f32_e32 v4, v4, v2
	v_add_f32_e32 v1, v1, v8
	v_mov_b32_e32 v24, v0
	v_sub_f32_e32 v5, v11, v5
	v_sub_f32_e32 v6, v2, v6
	v_add_f32_e32 v9, v20, v11
	v_add_f32_e32 v2, v21, v2
	v_mul_f32_e32 v10, 0x3f4a47b2, v13
	v_mul_f32_e32 v11, 0x3f4a47b2, v17
	;; [unrolled: 1-line block ×6, first 2 shown]
	s_mov_b32 s2, 0xbf5ff5aa
	v_mul_f32_e32 v22, 0xbf5ff5aa, v3
	v_mul_f32_e32 v23, 0xbf5ff5aa, v4
	v_fmac_f32_e32 v24, 0xbf955555, v7
	v_mov_b32_e32 v7, v1
	s_mov_b32 s3, 0x3f3bfb3b
	s_mov_b32 s4, 0xbf3bfb3b
	;; [unrolled: 1-line block ×3, first 2 shown]
	v_fmac_f32_e32 v7, 0xbf955555, v8
	v_fma_f32 v8, v18, s3, -v13
	v_fma_f32 v13, v19, s3, -v17
	;; [unrolled: 1-line block ×3, first 2 shown]
	v_fmac_f32_e32 v10, 0x3d64c772, v12
	v_fma_f32 v12, v19, s4, -v11
	v_fmac_f32_e32 v11, 0x3d64c772, v16
	v_fma_f32 v16, v3, s2, -v20
	;; [unrolled: 2-line block ×4, first 2 shown]
	v_fma_f32 v22, v6, s5, -v23
	v_add_f32_e32 v23, v10, v24
	v_add_f32_e32 v25, v11, v7
	;; [unrolled: 1-line block ×6, first 2 shown]
	v_fmac_f32_e32 v20, 0xbee1c552, v9
	v_fmac_f32_e32 v21, 0xbee1c552, v2
	;; [unrolled: 1-line block ×6, first 2 shown]
	v_add_f32_e32 v2, v21, v23
	v_sub_f32_e32 v3, v25, v20
	v_add_f32_e32 v4, v22, v11
	v_sub_f32_e32 v5, v12, v19
	v_sub_f32_e32 v6, v8, v18
	v_add_f32_e32 v7, v16, v10
	v_add_f32_e32 v8, v18, v8
	v_sub_f32_e32 v9, v10, v16
	v_sub_f32_e32 v10, v11, v22
	v_add_f32_e32 v11, v19, v12
	v_sub_f32_e32 v12, v23, v21
	v_add_f32_e32 v13, v20, v25
	s_barrier
	ds_write2_b64 v91, v[0:1], v[2:3] offset1:30
	ds_write2_b64 v91, v[4:5], v[6:7] offset0:60 offset1:90
	ds_write2_b64 v91, v[8:9], v[10:11] offset0:120 offset1:150
	ds_write_b64 v91, v[12:13] offset:1440
	s_waitcnt lgkmcnt(0)
	s_barrier
	ds_read2_b64 v[0:3], v77 offset1:210
	ds_read2_b64 v[4:7], v14 offset0:36 offset1:246
	ds_read2_b64 v[8:11], v15 offset0:8 offset1:218
	ds_read_b64 v[12:13], v77 offset:10080
	s_mul_hi_u32 s7, s8, 0xfffffdf3
	s_waitcnt lgkmcnt(3)
	v_mul_f32_e32 v16, v41, v3
	v_fmac_f32_e32 v16, v40, v2
	v_mul_f32_e32 v2, v41, v2
	v_fma_f32 v2, v40, v3, -v2
	s_waitcnt lgkmcnt(2)
	v_mul_f32_e32 v3, v43, v5
	v_fmac_f32_e32 v3, v42, v4
	v_mul_f32_e32 v4, v43, v4
	v_fma_f32 v4, v42, v5, -v4
	v_mul_f32_e32 v5, v37, v7
	v_fmac_f32_e32 v5, v36, v6
	v_mul_f32_e32 v6, v37, v6
	v_fma_f32 v6, v36, v7, -v6
	s_waitcnt lgkmcnt(1)
	v_mul_f32_e32 v7, v39, v9
	v_fmac_f32_e32 v7, v38, v8
	v_mul_f32_e32 v8, v39, v8
	v_fma_f32 v8, v38, v9, -v8
	v_mul_f32_e32 v9, v33, v11
	v_fmac_f32_e32 v9, v32, v10
	v_mul_f32_e32 v10, v33, v10
	v_fma_f32 v10, v32, v11, -v10
	s_waitcnt lgkmcnt(0)
	v_mul_f32_e32 v11, v35, v13
	v_fmac_f32_e32 v11, v34, v12
	v_mul_f32_e32 v12, v35, v12
	v_fma_f32 v12, v34, v13, -v12
	v_add_f32_e32 v13, v16, v11
	v_add_f32_e32 v17, v2, v12
	v_sub_f32_e32 v2, v2, v12
	v_add_f32_e32 v12, v3, v9
	v_sub_f32_e32 v11, v16, v11
	;; [unrolled: 2-line block ×6, first 2 shown]
	v_add_f32_e32 v8, v16, v17
	v_add_f32_e32 v7, v9, v7
	v_add_f32_e32 v8, v10, v8
	v_add_f32_e32 v0, v0, v7
	v_sub_f32_e32 v18, v12, v13
	v_sub_f32_e32 v19, v16, v17
	v_sub_f32_e32 v13, v13, v9
	v_sub_f32_e32 v17, v17, v10
	v_sub_f32_e32 v12, v9, v12
	v_sub_f32_e32 v16, v10, v16
	v_add_f32_e32 v20, v5, v3
	v_add_f32_e32 v21, v6, v4
	v_sub_f32_e32 v22, v5, v3
	v_sub_f32_e32 v23, v6, v4
	v_add_f32_e32 v1, v1, v8
	v_mov_b32_e32 v24, v0
	v_sub_f32_e32 v5, v11, v5
	v_sub_f32_e32 v6, v2, v6
	;; [unrolled: 1-line block ×4, first 2 shown]
	v_add_f32_e32 v9, v20, v11
	v_add_f32_e32 v2, v21, v2
	v_mul_f32_e32 v10, 0x3f4a47b2, v13
	v_mul_f32_e32 v11, 0x3f4a47b2, v17
	v_mul_f32_e32 v13, 0x3d64c772, v12
	v_mul_f32_e32 v17, 0x3d64c772, v16
	v_mul_f32_e32 v20, 0x3f08b237, v22
	v_mul_f32_e32 v21, 0x3f08b237, v23
	v_fmac_f32_e32 v24, 0xbf955555, v7
	v_mov_b32_e32 v7, v1
	v_mul_f32_e32 v22, 0xbf5ff5aa, v3
	v_mul_f32_e32 v23, 0xbf5ff5aa, v4
	v_fmac_f32_e32 v7, 0xbf955555, v8
	v_fma_f32 v8, v18, s3, -v13
	v_fma_f32 v13, v19, s3, -v17
	;; [unrolled: 1-line block ×3, first 2 shown]
	v_fmac_f32_e32 v10, 0x3d64c772, v12
	v_fma_f32 v12, v19, s4, -v11
	v_fmac_f32_e32 v11, 0x3d64c772, v16
	v_fma_f32 v16, v3, s2, -v20
	v_fmac_f32_e32 v20, 0xbeae86e6, v5
	v_fma_f32 v18, v4, s2, -v21
	v_fmac_f32_e32 v21, 0xbeae86e6, v6
	v_fma_f32 v19, v5, s5, -v22
	v_fma_f32 v22, v6, s5, -v23
	v_add_f32_e32 v23, v10, v24
	v_add_f32_e32 v25, v11, v7
	v_fmac_f32_e32 v20, 0xbee1c552, v9
	v_fmac_f32_e32 v21, 0xbee1c552, v2
	v_add_f32_e32 v8, v8, v24
	v_add_f32_e32 v10, v13, v7
	;; [unrolled: 1-line block ×4, first 2 shown]
	v_fmac_f32_e32 v16, 0xbee1c552, v9
	v_fmac_f32_e32 v18, 0xbee1c552, v2
	v_fmac_f32_e32 v19, 0xbee1c552, v9
	v_fmac_f32_e32 v22, 0xbee1c552, v2
	v_add_f32_e32 v2, v21, v23
	v_sub_f32_e32 v3, v25, v20
	v_add_f32_e32 v4, v22, v11
	v_sub_f32_e32 v5, v12, v19
	v_sub_f32_e32 v6, v8, v18
	v_add_f32_e32 v7, v16, v10
	v_add_f32_e32 v8, v18, v8
	v_sub_f32_e32 v9, v10, v16
	v_sub_f32_e32 v10, v11, v22
	v_add_f32_e32 v11, v19, v12
	v_sub_f32_e32 v12, v23, v21
	v_add_f32_e32 v13, v20, v25
	ds_write2_b64 v77, v[0:1], v[2:3] offset1:210
	ds_write2_b64 v14, v[4:5], v[6:7] offset0:36 offset1:246
	ds_write2_b64 v15, v[8:9], v[10:11] offset0:8 offset1:218
	ds_write_b64 v77, v[12:13] offset:10080
	s_waitcnt lgkmcnt(0)
	s_barrier
	ds_read2_b64 v[0:3], v77 offset1:210
	v_mad_u64_u32 v[8:9], s[2:3], s10, v62, 0
	s_mov_b32 s2, 0x3adcd25f
	s_mov_b32 s3, 0x3f464a89
	s_waitcnt lgkmcnt(0)
	v_mul_f32_e32 v4, v72, v1
	v_fmac_f32_e32 v4, v71, v0
	v_cvt_f64_f32_e32 v[4:5], v4
	v_mul_f32_e32 v0, v72, v0
	v_fma_f32 v0, v71, v1, -v0
	v_cvt_f64_f32_e32 v[0:1], v0
	v_mul_f64 v[4:5], v[4:5], s[2:3]
	v_mad_u64_u32 v[10:11], s[4:5], s8, v80, 0
	v_mov_b32_e32 v6, v9
	v_mad_u64_u32 v[6:7], s[4:5], s11, v62, v[6:7]
	v_mul_f64 v[0:1], v[0:1], s[2:3]
	s_mul_i32 s6, s9, 0xfffffdf3
	v_cvt_f32_f64_e32 v12, v[4:5]
	v_mov_b32_e32 v4, v11
	v_mad_u64_u32 v[14:15], s[4:5], s9, v80, v[4:5]
	v_add_u32_e32 v4, 0x1600, v77
	v_mov_b32_e32 v9, v6
	ds_read2_b64 v[4:7], v4 offset0:31 offset1:241
	v_cvt_f32_f64_e32 v13, v[0:1]
	v_lshlrev_b64 v[0:1], 3, v[8:9]
	v_mov_b32_e32 v11, v14
	v_mov_b32_e32 v14, s13
	s_waitcnt lgkmcnt(0)
	v_mul_f32_e32 v8, v70, v5
	v_fmac_f32_e32 v8, v69, v4
	v_mul_f32_e32 v4, v70, v4
	v_fma_f32 v4, v69, v5, -v4
	v_cvt_f64_f32_e32 v[8:9], v8
	v_cvt_f64_f32_e32 v[4:5], v4
	v_add_co_u32_e32 v15, vcc, s12, v0
	v_addc_co_u32_e32 v14, vcc, v14, v1, vcc
	v_mul_f64 v[0:1], v[8:9], s[2:3]
	v_mul_f64 v[4:5], v[4:5], s[2:3]
	v_lshlrev_b64 v[8:9], 3, v[10:11]
	s_mul_i32 s4, s9, 0x2df
	s_mul_hi_u32 s5, s8, 0x2df
	v_add_co_u32_e32 v8, vcc, v15, v8
	s_add_i32 s5, s5, s4
	v_cvt_f32_f64_e32 v0, v[0:1]
	v_cvt_f32_f64_e32 v1, v[4:5]
	v_mul_f32_e32 v4, v68, v3
	v_fmac_f32_e32 v4, v67, v2
	v_mul_f32_e32 v2, v68, v2
	v_fma_f32 v2, v67, v3, -v2
	v_cvt_f64_f32_e32 v[4:5], v4
	v_cvt_f64_f32_e32 v[2:3], v2
	s_mul_i32 s4, s8, 0x2df
	v_addc_co_u32_e32 v9, vcc, v14, v9, vcc
	v_mul_f64 v[4:5], v[4:5], s[2:3]
	v_mul_f64 v[2:3], v[2:3], s[2:3]
	s_lshl_b64 s[4:5], s[4:5], 3
	global_store_dwordx2 v[8:9], v[12:13], off
	v_mov_b32_e32 v12, s5
	v_add_co_u32_e32 v8, vcc, s4, v8
	v_addc_co_u32_e32 v9, vcc, v9, v12, vcc
	global_store_dwordx2 v[8:9], v[0:1], off
	v_cvt_f32_f64_e32 v0, v[4:5]
	v_cvt_f32_f64_e32 v1, v[2:3]
	v_mul_f32_e32 v2, v66, v7
	v_mul_f32_e32 v4, v66, v6
	v_fmac_f32_e32 v2, v65, v6
	v_fma_f32 v4, v65, v7, -v4
	v_cvt_f64_f32_e32 v[2:3], v2
	v_cvt_f64_f32_e32 v[4:5], v4
	s_sub_i32 s7, s7, s8
	s_add_i32 s7, s7, s6
	s_mul_i32 s6, s8, 0xfffffdf3
	v_mul_f64 v[2:3], v[2:3], s[2:3]
	v_mul_f64 v[4:5], v[4:5], s[2:3]
	s_lshl_b64 s[6:7], s[6:7], 3
	v_mov_b32_e32 v13, s7
	v_add_co_u32_e32 v6, vcc, s6, v8
	v_addc_co_u32_e32 v7, vcc, v9, v13, vcc
	ds_read_b64 v[8:9], v77 offset:3360
	global_store_dwordx2 v[6:7], v[0:1], off
	v_cvt_f32_f64_e32 v0, v[2:3]
	ds_read_b64 v[2:3], v77 offset:9240
	v_cvt_f32_f64_e32 v1, v[4:5]
	s_waitcnt lgkmcnt(1)
	v_mul_f32_e32 v4, v61, v9
	v_fmac_f32_e32 v4, v60, v8
	v_cvt_f64_f32_e32 v[4:5], v4
	v_mul_f32_e32 v8, v61, v8
	v_fma_f32 v8, v60, v9, -v8
	s_waitcnt lgkmcnt(0)
	v_mul_f32_e32 v10, v64, v3
	v_mul_f64 v[4:5], v[4:5], s[2:3]
	v_cvt_f64_f32_e32 v[8:9], v8
	v_fmac_f32_e32 v10, v63, v2
	v_mul_f32_e32 v2, v64, v2
	v_fma_f32 v2, v63, v3, -v2
	v_cvt_f64_f32_e32 v[10:11], v10
	v_cvt_f64_f32_e32 v[2:3], v2
	v_add_co_u32_e32 v6, vcc, s4, v6
	v_mul_f64 v[8:9], v[8:9], s[2:3]
	v_addc_co_u32_e32 v7, vcc, v7, v12, vcc
	global_store_dwordx2 v[6:7], v[0:1], off
	v_cvt_f32_f64_e32 v0, v[4:5]
	v_mul_f64 v[4:5], v[10:11], s[2:3]
	v_mul_f64 v[2:3], v[2:3], s[2:3]
	v_add_co_u32_e32 v6, vcc, s6, v6
	v_cvt_f32_f64_e32 v1, v[8:9]
	v_addc_co_u32_e32 v7, vcc, v7, v13, vcc
	v_cvt_f32_f64_e32 v4, v[4:5]
	v_cvt_f32_f64_e32 v5, v[2:3]
	global_store_dwordx2 v[6:7], v[0:1], off
	v_add_co_u32_e32 v0, vcc, s4, v6
	v_addc_co_u32_e32 v1, vcc, v7, v12, vcc
	global_store_dwordx2 v[0:1], v[4:5], off
	s_and_b64 exec, exec, s[0:1]
	s_cbranch_execz .LBB0_31
; %bb.30:
	v_add_co_u32_e32 v2, vcc, 0x1000, v78
	v_addc_co_u32_e32 v3, vcc, 0, v79, vcc
	s_movk_i32 s0, 0x2000
	v_add_co_u32_e32 v4, vcc, s0, v78
	global_load_dwordx2 v[2:3], v[2:3], off offset:944
	v_addc_co_u32_e32 v5, vcc, 0, v79, vcc
	global_load_dwordx2 v[4:5], v[4:5], off offset:2728
	ds_read_b64 v[6:7], v77 offset:5040
	ds_read_b64 v[8:9], v77 offset:10920
	v_mov_b32_e32 v10, s7
	v_add_co_u32_e32 v0, vcc, s6, v0
	v_addc_co_u32_e32 v1, vcc, v1, v10, vcc
	v_mov_b32_e32 v11, s5
	s_waitcnt vmcnt(1) lgkmcnt(1)
	v_mul_f32_e32 v12, v7, v3
	v_mul_f32_e32 v3, v6, v3
	v_fmac_f32_e32 v12, v6, v2
	s_waitcnt vmcnt(0) lgkmcnt(0)
	v_mul_f32_e32 v13, v9, v5
	v_mul_f32_e32 v5, v8, v5
	v_fma_f32 v6, v2, v7, -v3
	v_fmac_f32_e32 v13, v8, v4
	v_fma_f32 v8, v4, v9, -v5
	v_cvt_f64_f32_e32 v[2:3], v12
	v_cvt_f64_f32_e32 v[4:5], v6
	;; [unrolled: 1-line block ×4, first 2 shown]
	v_mul_f64 v[2:3], v[2:3], s[2:3]
	v_mul_f64 v[4:5], v[4:5], s[2:3]
	;; [unrolled: 1-line block ×4, first 2 shown]
	v_cvt_f32_f64_e32 v2, v[2:3]
	v_cvt_f32_f64_e32 v3, v[4:5]
	;; [unrolled: 1-line block ×4, first 2 shown]
	v_add_co_u32_e32 v6, vcc, s4, v0
	v_addc_co_u32_e32 v7, vcc, v1, v11, vcc
	global_store_dwordx2 v[0:1], v[2:3], off
	global_store_dwordx2 v[6:7], v[4:5], off
.LBB0_31:
	s_endpgm
	.section	.rodata,"a",@progbits
	.p2align	6, 0x0
	.amdhsa_kernel bluestein_single_back_len1470_dim1_sp_op_CI_CI
		.amdhsa_group_segment_fixed_size 11760
		.amdhsa_private_segment_fixed_size 0
		.amdhsa_kernarg_size 104
		.amdhsa_user_sgpr_count 6
		.amdhsa_user_sgpr_private_segment_buffer 1
		.amdhsa_user_sgpr_dispatch_ptr 0
		.amdhsa_user_sgpr_queue_ptr 0
		.amdhsa_user_sgpr_kernarg_segment_ptr 1
		.amdhsa_user_sgpr_dispatch_id 0
		.amdhsa_user_sgpr_flat_scratch_init 0
		.amdhsa_user_sgpr_private_segment_size 0
		.amdhsa_uses_dynamic_stack 0
		.amdhsa_system_sgpr_private_segment_wavefront_offset 0
		.amdhsa_system_sgpr_workgroup_id_x 1
		.amdhsa_system_sgpr_workgroup_id_y 0
		.amdhsa_system_sgpr_workgroup_id_z 0
		.amdhsa_system_sgpr_workgroup_info 0
		.amdhsa_system_vgpr_workitem_id 0
		.amdhsa_next_free_vgpr 107
		.amdhsa_next_free_sgpr 21
		.amdhsa_reserve_vcc 1
		.amdhsa_reserve_flat_scratch 0
		.amdhsa_float_round_mode_32 0
		.amdhsa_float_round_mode_16_64 0
		.amdhsa_float_denorm_mode_32 3
		.amdhsa_float_denorm_mode_16_64 3
		.amdhsa_dx10_clamp 1
		.amdhsa_ieee_mode 1
		.amdhsa_fp16_overflow 0
		.amdhsa_exception_fp_ieee_invalid_op 0
		.amdhsa_exception_fp_denorm_src 0
		.amdhsa_exception_fp_ieee_div_zero 0
		.amdhsa_exception_fp_ieee_overflow 0
		.amdhsa_exception_fp_ieee_underflow 0
		.amdhsa_exception_fp_ieee_inexact 0
		.amdhsa_exception_int_div_zero 0
	.end_amdhsa_kernel
	.text
.Lfunc_end0:
	.size	bluestein_single_back_len1470_dim1_sp_op_CI_CI, .Lfunc_end0-bluestein_single_back_len1470_dim1_sp_op_CI_CI
                                        ; -- End function
	.section	.AMDGPU.csdata,"",@progbits
; Kernel info:
; codeLenInByte = 8808
; NumSgprs: 25
; NumVgprs: 107
; ScratchSize: 0
; MemoryBound: 0
; FloatMode: 240
; IeeeMode: 1
; LDSByteSize: 11760 bytes/workgroup (compile time only)
; SGPRBlocks: 3
; VGPRBlocks: 26
; NumSGPRsForWavesPerEU: 25
; NumVGPRsForWavesPerEU: 107
; Occupancy: 2
; WaveLimiterHint : 1
; COMPUTE_PGM_RSRC2:SCRATCH_EN: 0
; COMPUTE_PGM_RSRC2:USER_SGPR: 6
; COMPUTE_PGM_RSRC2:TRAP_HANDLER: 0
; COMPUTE_PGM_RSRC2:TGID_X_EN: 1
; COMPUTE_PGM_RSRC2:TGID_Y_EN: 0
; COMPUTE_PGM_RSRC2:TGID_Z_EN: 0
; COMPUTE_PGM_RSRC2:TIDIG_COMP_CNT: 0
	.type	__hip_cuid_93d1e80d875108ad,@object ; @__hip_cuid_93d1e80d875108ad
	.section	.bss,"aw",@nobits
	.globl	__hip_cuid_93d1e80d875108ad
__hip_cuid_93d1e80d875108ad:
	.byte	0                               ; 0x0
	.size	__hip_cuid_93d1e80d875108ad, 1

	.ident	"AMD clang version 19.0.0git (https://github.com/RadeonOpenCompute/llvm-project roc-6.4.0 25133 c7fe45cf4b819c5991fe208aaa96edf142730f1d)"
	.section	".note.GNU-stack","",@progbits
	.addrsig
	.addrsig_sym __hip_cuid_93d1e80d875108ad
	.amdgpu_metadata
---
amdhsa.kernels:
  - .args:
      - .actual_access:  read_only
        .address_space:  global
        .offset:         0
        .size:           8
        .value_kind:     global_buffer
      - .actual_access:  read_only
        .address_space:  global
        .offset:         8
        .size:           8
        .value_kind:     global_buffer
      - .actual_access:  read_only
        .address_space:  global
        .offset:         16
        .size:           8
        .value_kind:     global_buffer
      - .actual_access:  read_only
        .address_space:  global
        .offset:         24
        .size:           8
        .value_kind:     global_buffer
      - .actual_access:  read_only
        .address_space:  global
        .offset:         32
        .size:           8
        .value_kind:     global_buffer
      - .offset:         40
        .size:           8
        .value_kind:     by_value
      - .address_space:  global
        .offset:         48
        .size:           8
        .value_kind:     global_buffer
      - .address_space:  global
        .offset:         56
        .size:           8
        .value_kind:     global_buffer
      - .address_space:  global
        .offset:         64
        .size:           8
        .value_kind:     global_buffer
      - .address_space:  global
        .offset:         72
        .size:           8
        .value_kind:     global_buffer
      - .offset:         80
        .size:           4
        .value_kind:     by_value
      - .address_space:  global
        .offset:         88
        .size:           8
        .value_kind:     global_buffer
      - .address_space:  global
        .offset:         96
        .size:           8
        .value_kind:     global_buffer
    .group_segment_fixed_size: 11760
    .kernarg_segment_align: 8
    .kernarg_segment_size: 104
    .language:       OpenCL C
    .language_version:
      - 2
      - 0
    .max_flat_workgroup_size: 210
    .name:           bluestein_single_back_len1470_dim1_sp_op_CI_CI
    .private_segment_fixed_size: 0
    .sgpr_count:     25
    .sgpr_spill_count: 0
    .symbol:         bluestein_single_back_len1470_dim1_sp_op_CI_CI.kd
    .uniform_work_group_size: 1
    .uses_dynamic_stack: false
    .vgpr_count:     107
    .vgpr_spill_count: 0
    .wavefront_size: 64
amdhsa.target:   amdgcn-amd-amdhsa--gfx906
amdhsa.version:
  - 1
  - 2
...

	.end_amdgpu_metadata
